;; amdgpu-corpus repo=ROCm/rocFFT kind=compiled arch=gfx906 opt=O3
	.text
	.amdgcn_target "amdgcn-amd-amdhsa--gfx906"
	.amdhsa_code_object_version 6
	.protected	fft_rtc_fwd_len234_factors_13_9_2_wgs_52_tpt_26_half_ip_CI_unitstride_sbrr_R2C_dirReg ; -- Begin function fft_rtc_fwd_len234_factors_13_9_2_wgs_52_tpt_26_half_ip_CI_unitstride_sbrr_R2C_dirReg
	.globl	fft_rtc_fwd_len234_factors_13_9_2_wgs_52_tpt_26_half_ip_CI_unitstride_sbrr_R2C_dirReg
	.p2align	8
	.type	fft_rtc_fwd_len234_factors_13_9_2_wgs_52_tpt_26_half_ip_CI_unitstride_sbrr_R2C_dirReg,@function
fft_rtc_fwd_len234_factors_13_9_2_wgs_52_tpt_26_half_ip_CI_unitstride_sbrr_R2C_dirReg: ; @fft_rtc_fwd_len234_factors_13_9_2_wgs_52_tpt_26_half_ip_CI_unitstride_sbrr_R2C_dirReg
; %bb.0:
	s_load_dwordx2 s[12:13], s[4:5], 0x50
	s_load_dwordx4 s[8:11], s[4:5], 0x0
	s_load_dwordx2 s[2:3], s[4:5], 0x18
	v_mul_u32_u24_e32 v1, 0x9d9, v0
	v_lshrrev_b32_e32 v9, 16, v1
	v_mov_b32_e32 v3, 0
	s_waitcnt lgkmcnt(0)
	v_cmp_lt_u64_e64 s[0:1], s[10:11], 2
	v_mov_b32_e32 v1, 0
	v_lshl_add_u32 v5, s6, 1, v9
	v_mov_b32_e32 v6, v3
	s_and_b64 vcc, exec, s[0:1]
	v_mov_b32_e32 v2, 0
	s_cbranch_vccnz .LBB0_8
; %bb.1:
	s_load_dwordx2 s[0:1], s[4:5], 0x10
	s_add_u32 s6, s2, 8
	s_addc_u32 s7, s3, 0
	v_mov_b32_e32 v1, 0
	v_mov_b32_e32 v2, 0
	s_waitcnt lgkmcnt(0)
	s_add_u32 s14, s0, 8
	s_addc_u32 s15, s1, 0
	s_mov_b64 s[16:17], 1
.LBB0_2:                                ; =>This Inner Loop Header: Depth=1
	s_load_dwordx2 s[18:19], s[14:15], 0x0
                                        ; implicit-def: $vgpr7_vgpr8
	s_waitcnt lgkmcnt(0)
	v_or_b32_e32 v4, s19, v6
	v_cmp_ne_u64_e32 vcc, 0, v[3:4]
	s_and_saveexec_b64 s[0:1], vcc
	s_xor_b64 s[20:21], exec, s[0:1]
	s_cbranch_execz .LBB0_4
; %bb.3:                                ;   in Loop: Header=BB0_2 Depth=1
	v_cvt_f32_u32_e32 v4, s18
	v_cvt_f32_u32_e32 v7, s19
	s_sub_u32 s0, 0, s18
	s_subb_u32 s1, 0, s19
	v_mac_f32_e32 v4, 0x4f800000, v7
	v_rcp_f32_e32 v4, v4
	v_mul_f32_e32 v4, 0x5f7ffffc, v4
	v_mul_f32_e32 v7, 0x2f800000, v4
	v_trunc_f32_e32 v7, v7
	v_mac_f32_e32 v4, 0xcf800000, v7
	v_cvt_u32_f32_e32 v7, v7
	v_cvt_u32_f32_e32 v4, v4
	v_mul_lo_u32 v8, s0, v7
	v_mul_hi_u32 v10, s0, v4
	v_mul_lo_u32 v12, s1, v4
	v_mul_lo_u32 v11, s0, v4
	v_add_u32_e32 v8, v10, v8
	v_add_u32_e32 v8, v8, v12
	v_mul_hi_u32 v10, v4, v11
	v_mul_lo_u32 v12, v4, v8
	v_mul_hi_u32 v14, v4, v8
	v_mul_hi_u32 v13, v7, v11
	v_mul_lo_u32 v11, v7, v11
	v_mul_hi_u32 v15, v7, v8
	v_add_co_u32_e32 v10, vcc, v10, v12
	v_addc_co_u32_e32 v12, vcc, 0, v14, vcc
	v_mul_lo_u32 v8, v7, v8
	v_add_co_u32_e32 v10, vcc, v10, v11
	v_addc_co_u32_e32 v10, vcc, v12, v13, vcc
	v_addc_co_u32_e32 v11, vcc, 0, v15, vcc
	v_add_co_u32_e32 v8, vcc, v10, v8
	v_addc_co_u32_e32 v10, vcc, 0, v11, vcc
	v_add_co_u32_e32 v4, vcc, v4, v8
	v_addc_co_u32_e32 v7, vcc, v7, v10, vcc
	v_mul_lo_u32 v8, s0, v7
	v_mul_hi_u32 v10, s0, v4
	v_mul_lo_u32 v11, s1, v4
	v_mul_lo_u32 v12, s0, v4
	v_add_u32_e32 v8, v10, v8
	v_add_u32_e32 v8, v8, v11
	v_mul_lo_u32 v13, v4, v8
	v_mul_hi_u32 v14, v4, v12
	v_mul_hi_u32 v15, v4, v8
	;; [unrolled: 1-line block ×3, first 2 shown]
	v_mul_lo_u32 v12, v7, v12
	v_mul_hi_u32 v10, v7, v8
	v_add_co_u32_e32 v13, vcc, v14, v13
	v_addc_co_u32_e32 v14, vcc, 0, v15, vcc
	v_mul_lo_u32 v8, v7, v8
	v_add_co_u32_e32 v12, vcc, v13, v12
	v_addc_co_u32_e32 v11, vcc, v14, v11, vcc
	v_addc_co_u32_e32 v10, vcc, 0, v10, vcc
	v_add_co_u32_e32 v8, vcc, v11, v8
	v_addc_co_u32_e32 v10, vcc, 0, v10, vcc
	v_add_co_u32_e32 v4, vcc, v4, v8
	v_addc_co_u32_e32 v10, vcc, v7, v10, vcc
	v_mad_u64_u32 v[7:8], s[0:1], v5, v10, 0
	v_mul_hi_u32 v11, v5, v4
	v_add_co_u32_e32 v12, vcc, v11, v7
	v_addc_co_u32_e32 v13, vcc, 0, v8, vcc
	v_mad_u64_u32 v[7:8], s[0:1], v6, v4, 0
	v_mad_u64_u32 v[10:11], s[0:1], v6, v10, 0
	v_add_co_u32_e32 v4, vcc, v12, v7
	v_addc_co_u32_e32 v4, vcc, v13, v8, vcc
	v_addc_co_u32_e32 v7, vcc, 0, v11, vcc
	v_add_co_u32_e32 v4, vcc, v4, v10
	v_addc_co_u32_e32 v10, vcc, 0, v7, vcc
	v_mul_lo_u32 v11, s19, v4
	v_mul_lo_u32 v12, s18, v10
	v_mad_u64_u32 v[7:8], s[0:1], s18, v4, 0
	v_add3_u32 v8, v8, v12, v11
	v_sub_u32_e32 v11, v6, v8
	v_mov_b32_e32 v12, s19
	v_sub_co_u32_e32 v7, vcc, v5, v7
	v_subb_co_u32_e64 v11, s[0:1], v11, v12, vcc
	v_subrev_co_u32_e64 v12, s[0:1], s18, v7
	v_subbrev_co_u32_e64 v11, s[0:1], 0, v11, s[0:1]
	v_cmp_le_u32_e64 s[0:1], s19, v11
	v_cndmask_b32_e64 v13, 0, -1, s[0:1]
	v_cmp_le_u32_e64 s[0:1], s18, v12
	v_cndmask_b32_e64 v12, 0, -1, s[0:1]
	v_cmp_eq_u32_e64 s[0:1], s19, v11
	v_cndmask_b32_e64 v11, v13, v12, s[0:1]
	v_add_co_u32_e64 v12, s[0:1], 2, v4
	v_addc_co_u32_e64 v13, s[0:1], 0, v10, s[0:1]
	v_add_co_u32_e64 v14, s[0:1], 1, v4
	v_addc_co_u32_e64 v15, s[0:1], 0, v10, s[0:1]
	v_subb_co_u32_e32 v8, vcc, v6, v8, vcc
	v_cmp_ne_u32_e64 s[0:1], 0, v11
	v_cmp_le_u32_e32 vcc, s19, v8
	v_cndmask_b32_e64 v11, v15, v13, s[0:1]
	v_cndmask_b32_e64 v13, 0, -1, vcc
	v_cmp_le_u32_e32 vcc, s18, v7
	v_cndmask_b32_e64 v7, 0, -1, vcc
	v_cmp_eq_u32_e32 vcc, s19, v8
	v_cndmask_b32_e32 v7, v13, v7, vcc
	v_cmp_ne_u32_e32 vcc, 0, v7
	v_cndmask_b32_e64 v7, v14, v12, s[0:1]
	v_cndmask_b32_e32 v8, v10, v11, vcc
	v_cndmask_b32_e32 v7, v4, v7, vcc
.LBB0_4:                                ;   in Loop: Header=BB0_2 Depth=1
	s_andn2_saveexec_b64 s[0:1], s[20:21]
	s_cbranch_execz .LBB0_6
; %bb.5:                                ;   in Loop: Header=BB0_2 Depth=1
	v_cvt_f32_u32_e32 v4, s18
	s_sub_i32 s20, 0, s18
	v_rcp_iflag_f32_e32 v4, v4
	v_mul_f32_e32 v4, 0x4f7ffffe, v4
	v_cvt_u32_f32_e32 v4, v4
	v_mul_lo_u32 v7, s20, v4
	v_mul_hi_u32 v7, v4, v7
	v_add_u32_e32 v4, v4, v7
	v_mul_hi_u32 v4, v5, v4
	v_mul_lo_u32 v7, v4, s18
	v_add_u32_e32 v8, 1, v4
	v_sub_u32_e32 v7, v5, v7
	v_subrev_u32_e32 v10, s18, v7
	v_cmp_le_u32_e32 vcc, s18, v7
	v_cndmask_b32_e32 v7, v7, v10, vcc
	v_cndmask_b32_e32 v4, v4, v8, vcc
	v_add_u32_e32 v8, 1, v4
	v_cmp_le_u32_e32 vcc, s18, v7
	v_cndmask_b32_e32 v7, v4, v8, vcc
	v_mov_b32_e32 v8, v3
.LBB0_6:                                ;   in Loop: Header=BB0_2 Depth=1
	s_or_b64 exec, exec, s[0:1]
	v_mul_lo_u32 v4, v8, s18
	v_mul_lo_u32 v12, v7, s19
	v_mad_u64_u32 v[10:11], s[0:1], v7, s18, 0
	s_load_dwordx2 s[0:1], s[6:7], 0x0
	s_add_u32 s16, s16, 1
	v_add3_u32 v4, v11, v12, v4
	v_sub_co_u32_e32 v5, vcc, v5, v10
	v_subb_co_u32_e32 v4, vcc, v6, v4, vcc
	s_waitcnt lgkmcnt(0)
	v_mul_lo_u32 v4, s0, v4
	v_mul_lo_u32 v6, s1, v5
	v_mad_u64_u32 v[1:2], s[0:1], s0, v5, v[1:2]
	s_addc_u32 s17, s17, 0
	s_add_u32 s6, s6, 8
	v_add3_u32 v2, v6, v2, v4
	v_mov_b32_e32 v4, s10
	v_mov_b32_e32 v5, s11
	s_addc_u32 s7, s7, 0
	v_cmp_ge_u64_e32 vcc, s[16:17], v[4:5]
	s_add_u32 s14, s14, 8
	s_addc_u32 s15, s15, 0
	s_cbranch_vccnz .LBB0_9
; %bb.7:                                ;   in Loop: Header=BB0_2 Depth=1
	v_mov_b32_e32 v5, v7
	v_mov_b32_e32 v6, v8
	s_branch .LBB0_2
.LBB0_8:
	v_mov_b32_e32 v8, v6
	v_mov_b32_e32 v7, v5
.LBB0_9:
	s_lshl_b64 s[0:1], s[10:11], 3
	s_add_u32 s0, s2, s0
	s_addc_u32 s1, s3, s1
	s_load_dwordx2 s[2:3], s[0:1], 0x0
	s_load_dwordx2 s[6:7], s[4:5], 0x20
	v_and_b32_e32 v5, 1, v9
	v_mov_b32_e32 v6, 0xeb
	v_cmp_eq_u32_e32 vcc, 1, v5
	s_waitcnt lgkmcnt(0)
	v_mul_lo_u32 v3, s2, v8
	v_mul_lo_u32 v4, s3, v7
	v_mad_u64_u32 v[1:2], s[0:1], s2, v7, v[1:2]
	s_mov_b32 s0, 0x9d89d8a
	v_cndmask_b32_e32 v21, 0, v6, vcc
	v_add3_u32 v2, v4, v2, v3
	v_mul_hi_u32 v3, v0, s0
	v_cmp_gt_u64_e32 vcc, s[6:7], v[7:8]
	v_lshlrev_b32_e32 v25, 2, v21
	v_mul_u32_u24_e32 v3, 26, v3
	v_sub_u32_e32 v0, v0, v3
	v_lshlrev_b64 v[2:3], 2, v[1:2]
	v_lshlrev_b32_e32 v19, 2, v0
	s_and_saveexec_b64 s[2:3], vcc
	s_cbranch_execz .LBB0_11
; %bb.10:
	v_mov_b32_e32 v1, 0
	v_mov_b32_e32 v4, s13
	v_add_co_u32_e64 v6, s[0:1], s12, v2
	v_addc_co_u32_e64 v7, s[0:1], v4, v3, s[0:1]
	v_lshlrev_b64 v[4:5], 2, v[0:1]
	v_add_co_u32_e64 v4, s[0:1], v6, v4
	v_addc_co_u32_e64 v5, s[0:1], v7, v5, s[0:1]
	global_load_dword v1, v[4:5], off
	global_load_dword v6, v[4:5], off offset:104
	global_load_dword v7, v[4:5], off offset:208
	;; [unrolled: 1-line block ×8, first 2 shown]
	v_add3_u32 v4, 0, v25, v19
	s_waitcnt vmcnt(7)
	ds_write2_b32 v4, v1, v6 offset1:26
	s_waitcnt vmcnt(5)
	ds_write2_b32 v4, v7, v8 offset0:52 offset1:78
	s_waitcnt vmcnt(3)
	ds_write2_b32 v4, v9, v10 offset0:104 offset1:130
	s_waitcnt vmcnt(1)
	ds_write2_b32 v4, v11, v12 offset0:156 offset1:182
	s_waitcnt vmcnt(0)
	ds_write_b32 v4, v13 offset:832
.LBB0_11:
	s_or_b64 exec, exec, s[2:3]
	v_add_u32_e32 v23, 0, v19
	v_add_u32_e32 v20, v23, v25
	s_waitcnt lgkmcnt(0)
	; wave barrier
	s_waitcnt lgkmcnt(0)
	ds_read2_b32 v[6:7], v20 offset0:198 offset1:216
	ds_read2_b32 v[12:13], v20 offset0:18 offset1:36
	;; [unrolled: 1-line block ×6, first 2 shown]
	v_add_u32_e32 v22, 0, v25
	s_waitcnt lgkmcnt(4)
	v_pk_add_f16 v1, v12, v7 neg_lo:[0,1] neg_hi:[0,1]
	s_mov_b32 s4, 0xbb7b
	v_add_u32_e32 v18, v22, v19
	v_pk_add_f16 v27, v7, v12
	v_pk_add_f16 v4, v13, v6 neg_lo:[0,1] neg_hi:[0,1]
	v_pk_mul_f16 v5, v1, s4 op_sel_hi:[1,0]
	s_mov_b32 s5, 0xb5ac
	s_movk_i32 s17, 0x394e
	ds_read_b32 v36, v18
	v_pk_add_f16 v26, v6, v13
	v_pk_fma_f16 v39, v27, s5, v5 op_sel:[0,0,1] op_sel_hi:[1,0,0]
	v_pk_fma_f16 v40, v27, s5, v5 op_sel:[0,0,1] op_sel_hi:[1,0,0] neg_lo:[0,0,1] neg_hi:[0,0,1]
	v_pk_mul_f16 v5, v4, s17 op_sel_hi:[1,0]
	s_mov_b32 s7, 0xb9fd
	s_movk_i32 s6, 0x3770
	s_waitcnt lgkmcnt(3)
	v_pk_add_f16 v28, v10, v9 neg_lo:[0,1] neg_hi:[0,1]
	v_pk_fma_f16 v41, v26, s7, v5 op_sel:[0,0,1] op_sel_hi:[1,0,0]
	v_pk_fma_f16 v42, v26, s7, v5 op_sel:[0,0,1] op_sel_hi:[1,0,0] neg_lo:[0,0,1] neg_hi:[0,0,1]
	s_movk_i32 s11, 0x3b15
	v_pk_add_f16 v30, v9, v10
	v_pk_mul_f16 v5, v28, s6 op_sel_hi:[1,0]
	s_mov_b32 s19, 0xbbf1
	v_pk_add_f16 v29, v11, v8 neg_lo:[0,1] neg_hi:[0,1]
	v_pk_fma_f16 v43, v30, s11, v5 op_sel:[0,0,1] op_sel_hi:[1,0,0]
	v_pk_fma_f16 v44, v30, s11, v5 op_sel:[0,0,1] op_sel_hi:[1,0,0] neg_lo:[0,0,1] neg_hi:[0,0,1]
	s_movk_i32 s10, 0x2fb7
	v_pk_add_f16 v32, v8, v11
	v_pk_mul_f16 v5, v29, s19 op_sel_hi:[1,0]
	s_movk_i32 s18, 0x33a8
	s_waitcnt lgkmcnt(1)
	v_pk_add_f16 v31, v16, v15 neg_lo:[0,1] neg_hi:[0,1]
	s_movk_i32 s14, 0x3a95
	v_pk_add_f16 v34, v17, v14 neg_lo:[0,1] neg_hi:[0,1]
	v_pk_fma_f16 v45, v32, s10, v5 op_sel:[0,0,1] op_sel_hi:[1,0,0]
	v_pk_fma_f16 v46, v32, s10, v5 op_sel:[0,0,1] op_sel_hi:[1,0,0] neg_lo:[0,0,1] neg_hi:[0,0,1]
	s_mov_b32 s15, 0xbbc4
	v_pk_add_f16 v33, v15, v16
	v_pk_mul_f16 v5, v31, s18 op_sel_hi:[1,0]
	s_movk_i32 s16, 0x388b
	v_pk_add_f16 v35, v14, v17
	v_pk_mul_f16 v24, v34, s14 op_sel_hi:[1,0]
	v_pk_fma_f16 v47, v33, s15, v5 op_sel:[0,0,1] op_sel_hi:[1,0,0]
	v_pk_fma_f16 v48, v33, s15, v5 op_sel:[0,0,1] op_sel_hi:[1,0,0] neg_lo:[0,0,1] neg_hi:[0,0,1]
	s_waitcnt lgkmcnt(0)
	v_add_f16_e32 v5, v36, v39
	v_pk_fma_f16 v49, v35, s16, v24 op_sel:[0,0,1] op_sel_hi:[1,0,0]
	v_pk_fma_f16 v50, v35, s16, v24 op_sel:[0,0,1] op_sel_hi:[1,0,0] neg_lo:[0,0,1] neg_hi:[0,0,1]
	v_add_f16_sdwa v24, v36, v40 dst_sel:DWORD dst_unused:UNUSED_PAD src0_sel:WORD_1 src1_sel:WORD_1
	v_add_f16_e32 v5, v41, v5
	v_add_f16_sdwa v24, v42, v24 dst_sel:DWORD dst_unused:UNUSED_PAD src0_sel:WORD_1 src1_sel:DWORD
	v_add_f16_e32 v5, v43, v5
	v_add_f16_sdwa v24, v44, v24 dst_sel:DWORD dst_unused:UNUSED_PAD src0_sel:WORD_1 src1_sel:DWORD
	;; [unrolled: 2-line block ×4, first 2 shown]
	v_add_f16_sdwa v24, v50, v24 dst_sel:DWORD dst_unused:UNUSED_PAD src0_sel:WORD_1 src1_sel:DWORD
	v_cmp_gt_u32_e64 s[0:1], 18, v0
	v_add_f16_e32 v5, v49, v5
	s_waitcnt lgkmcnt(0)
	; wave barrier
	s_and_saveexec_b64 s[2:3], s[0:1]
	s_cbranch_execz .LBB0_13
; %bb.12:
	v_lshrrev_b32_e32 v51, 16, v27
	v_mul_f16_e32 v52, 0xb9fd, v51
	v_lshrrev_b32_e32 v53, 16, v26
	v_fma_f16 v37, v1, s17, v52
	v_mul_f16_e32 v54, 0x2fb7, v53
	v_lshrrev_b32_e32 v55, 16, v30
	v_add_f16_sdwa v37, v36, v37 dst_sel:DWORD dst_unused:UNUSED_PAD src0_sel:WORD_1 src1_sel:DWORD
	v_fma_f16 v38, v4, s19, v54
	v_mul_f16_e32 v56, 0x388b, v55
	v_lshrrev_b32_e32 v57, 16, v32
	v_add_f16_e32 v37, v38, v37
	v_fma_f16 v38, v28, s14, v56
	v_mul_f16_e32 v58, 0xbbc4, v57
	s_mov_b32 s0, 0xb3a8
	v_lshrrev_b32_e32 v59, 16, v33
	v_add_f16_e32 v37, v38, v37
	v_fma_f16 v38, v29, s0, v58
	s_mov_b32 s20, 0xb770
	v_mul_f16_e32 v60, 0x3b15, v59
	v_lshrrev_b32_e32 v61, 16, v35
	v_add_f16_e32 v37, v38, v37
	v_fma_f16 v38, v31, s20, v60
	s_movk_i32 s22, 0x3b7b
	v_mul_f16_e32 v62, 0xb5ac, v61
	s_mov_b32 s17, 0xb94e
	v_add_f16_e32 v37, v38, v37
	v_fma_f16 v38, v34, s22, v62
	v_mul_f16_sdwa v63, v1, s17 dst_sel:DWORD dst_unused:UNUSED_PAD src0_sel:WORD_1 src1_sel:DWORD
	s_movk_i32 s1, 0x3bf1
	v_add_f16_e32 v37, v38, v37
	v_fma_f16 v38, v27, s7, v63
	v_mul_f16_sdwa v64, v4, s1 dst_sel:DWORD dst_unused:UNUSED_PAD src0_sel:WORD_1 src1_sel:DWORD
	v_add_f16_e32 v38, v36, v38
	v_fma_f16 v65, v26, s10, v64
	s_mov_b32 s21, 0xba95
	v_fma_f16 v52, v1, s17, v52
	v_add_f16_e32 v38, v65, v38
	v_mul_f16_sdwa v65, v28, s21 dst_sel:DWORD dst_unused:UNUSED_PAD src0_sel:WORD_1 src1_sel:DWORD
	v_add_f16_sdwa v52, v36, v52 dst_sel:DWORD dst_unused:UNUSED_PAD src0_sel:WORD_1 src1_sel:DWORD
	v_fma_f16 v54, v4, s1, v54
	v_fma_f16 v66, v30, s16, v65
	v_add_f16_e32 v52, v54, v52
	v_fma_f16 v54, v28, s21, v56
	v_add_f16_e32 v38, v66, v38
	v_mul_f16_sdwa v66, v29, s18 dst_sel:DWORD dst_unused:UNUSED_PAD src0_sel:WORD_1 src1_sel:DWORD
	v_add_f16_e32 v52, v54, v52
	v_fma_f16 v54, v29, s18, v58
	s_mov_b32 s18, 0xffff
	v_bfi_b32 v39, s18, v40, v39
	v_bfi_b32 v40, s18, v42, v41
	;; [unrolled: 1-line block ×3, first 2 shown]
	v_mul_f16_e32 v45, 0xbbf1, v1
	v_bfi_b32 v41, s18, v44, v43
	v_bfi_b32 v43, s18, v48, v47
	v_fma_f16 v46, v51, s10, v45
	v_mul_f16_e32 v47, 0xb3a8, v4
	v_add_f16_sdwa v46, v36, v46 dst_sel:DWORD dst_unused:UNUSED_PAD src0_sel:WORD_1 src1_sel:DWORD
	v_fma_f16 v48, v53, s15, v47
	v_add_f16_e32 v46, v48, v46
	v_mul_f16_e32 v48, 0x3b7b, v28
	v_pk_add_f16 v12, v36, v12
	v_bfi_b32 v44, s18, v50, v49
	v_fma_f16 v49, v55, s5, v48
	v_pk_add_f16 v12, v12, v13
	v_mul_f16_e32 v13, 0x3770, v29
	v_add_f16_e32 v46, v49, v46
	v_fma_f16 v49, v57, s11, v13
	v_add_f16_e32 v46, v49, v46
	v_mul_f16_e32 v49, 0xba95, v31
	v_pk_add_f16 v10, v12, v10
	v_fma_f16 v50, v59, s16, v49
	v_pk_add_f16 v10, v10, v11
	v_mul_f16_e32 v11, 0xb9fd, v61
	v_add_f16_e32 v46, v50, v46
	v_fma_f16 v12, v34, s17, v11
	v_add_f16_e32 v12, v12, v46
	v_mul_f16_sdwa v46, v1, s19 dst_sel:DWORD dst_unused:UNUSED_PAD src0_sel:WORD_1 src1_sel:DWORD
	v_pk_add_f16 v10, v10, v16
	v_pk_add_f16 v10, v10, v17
	v_fma_f16 v16, v27, s10, -v46
	v_mul_f16_sdwa v17, v4, s0 dst_sel:DWORD dst_unused:UNUSED_PAD src0_sel:WORD_1 src1_sel:DWORD
	v_add_f16_e32 v52, v54, v52
	v_fma_f16 v54, v31, s6, v60
	v_add_f16_e32 v16, v36, v16
	v_fma_f16 v50, v26, s15, -v17
	v_pk_add_f16 v10, v10, v14
	v_mul_f16_sdwa v14, v28, s22 dst_sel:DWORD dst_unused:UNUSED_PAD src0_sel:WORD_1 src1_sel:DWORD
	v_add_f16_e32 v52, v54, v52
	v_fma_f16 v54, v34, s4, v62
	v_add_f16_e32 v16, v50, v16
	v_pk_add_f16 v10, v10, v15
	v_fma_f16 v15, v30, s5, -v14
	v_add_f16_e32 v52, v54, v52
	v_fma_f16 v54, v27, s7, -v63
	v_add_f16_e32 v15, v15, v16
	v_mul_f16_sdwa v16, v29, s6 dst_sel:DWORD dst_unused:UNUSED_PAD src0_sel:WORD_1 src1_sel:DWORD
	v_pk_add_f16 v8, v10, v8
	v_fma_f16 v67, v32, s15, v66
	v_add_f16_e32 v54, v36, v54
	v_fma_f16 v56, v26, s10, -v64
	v_fma_f16 v50, v32, s11, -v16
	v_pk_add_f16 v8, v8, v9
	v_mul_f16_sdwa v9, v31, s21 dst_sel:DWORD dst_unused:UNUSED_PAD src0_sel:WORD_1 src1_sel:DWORD
	v_add_f16_e32 v38, v67, v38
	v_mul_f16_sdwa v67, v31, s6 dst_sel:DWORD dst_unused:UNUSED_PAD src0_sel:WORD_1 src1_sel:DWORD
	v_add_f16_e32 v54, v56, v54
	v_fma_f16 v56, v30, s16, -v65
	v_add_f16_e32 v15, v50, v15
	v_fma_f16 v10, v33, s16, -v9
	v_fma_f16 v68, v33, s11, v67
	v_add_f16_e32 v54, v56, v54
	v_fma_f16 v56, v32, s15, -v66
	v_add_f16_e32 v10, v10, v15
	v_mul_f16_sdwa v15, v34, s17 dst_sel:DWORD dst_unused:UNUSED_PAD src0_sel:WORD_1 src1_sel:DWORD
	v_pk_add_f16 v6, v8, v6
	v_add_f16_e32 v38, v68, v38
	v_mul_f16_sdwa v68, v34, s4 dst_sel:DWORD dst_unused:UNUSED_PAD src0_sel:WORD_1 src1_sel:DWORD
	v_add_f16_e32 v54, v56, v54
	v_fma_f16 v56, v33, s11, -v67
	v_fma_f16 v50, v35, s7, -v15
	v_pk_add_f16 v6, v6, v7
	v_mul_f16_e32 v7, 0xba95, v1
	v_add_f16_e32 v54, v56, v54
	v_fma_f16 v56, v35, s5, -v68
	v_add_f16_e32 v10, v50, v10
	v_fma_f16 v8, v51, s16, v7
	v_mul_f16_e32 v50, 0xbb7b, v4
	v_add_f16_e32 v54, v56, v54
	v_add_f16_sdwa v8, v36, v8 dst_sel:DWORD dst_unused:UNUSED_PAD src0_sel:WORD_1 src1_sel:DWORD
	v_fma_f16 v56, v53, s5, v50
	v_add_f16_e32 v8, v56, v8
	v_mul_f16_e32 v56, 0xb3a8, v28
	v_fma_f16 v58, v55, s15, v56
	v_add_f16_e32 v8, v58, v8
	v_mul_f16_e32 v58, 0x394e, v29
	;; [unrolled: 3-line block ×3, first 2 shown]
	v_fma_f16 v45, v51, s10, -v45
	v_fma_f16 v62, v59, s10, v60
	v_add_f16_sdwa v45, v36, v45 dst_sel:DWORD dst_unused:UNUSED_PAD src0_sel:WORD_1 src1_sel:DWORD
	v_fma_f16 v47, v53, s15, -v47
	v_add_f16_e32 v8, v62, v8
	v_mul_f16_e32 v62, 0x3770, v34
	v_add_f16_e32 v45, v47, v45
	v_fma_f16 v47, v55, s5, -v48
	v_fma_f16 v63, v61, s11, v62
	v_add_f16_e32 v45, v47, v45
	v_fma_f16 v13, v57, s11, -v13
	v_add_f16_e32 v8, v63, v8
	v_mul_f16_sdwa v63, v1, s20 dst_sel:DWORD dst_unused:UNUSED_PAD src0_sel:WORD_1 src1_sel:DWORD
	v_add_f16_e32 v13, v13, v45
	v_fma_f16 v45, v27, s10, v46
	v_fma_f16 v64, v27, s11, -v63
	v_mul_f16_sdwa v65, v4, s21 dst_sel:DWORD dst_unused:UNUSED_PAD src0_sel:WORD_1 src1_sel:DWORD
	v_add_f16_e32 v45, v36, v45
	v_fma_f16 v17, v26, s15, v17
	v_add_f16_e32 v64, v36, v64
	v_fma_f16 v66, v26, s16, -v65
	v_add_f16_e32 v17, v17, v45
	v_fma_f16 v14, v30, s5, v14
	v_add_f16_e32 v64, v66, v64
	v_mul_f16_sdwa v66, v28, s19 dst_sel:DWORD dst_unused:UNUSED_PAD src0_sel:WORD_1 src1_sel:DWORD
	v_add_f16_e32 v14, v14, v17
	v_fma_f16 v16, v32, s11, v16
	v_fma_f16 v67, v30, s10, -v66
	v_add_f16_e32 v14, v16, v14
	v_fma_f16 v9, v33, s16, v9
	v_add_f16_e32 v64, v67, v64
	v_mul_f16_sdwa v67, v29, s4 dst_sel:DWORD dst_unused:UNUSED_PAD src0_sel:WORD_1 src1_sel:DWORD
	v_add_f16_e32 v9, v9, v14
	v_fma_f16 v14, v35, s7, v15
	v_fma_f16 v7, v51, s16, -v7
	v_fma_f16 v17, v59, s16, -v49
	v_fma_f16 v49, v27, s11, v63
	v_fma_f16 v69, v35, s5, v68
	v_fma_f16 v68, v32, s5, -v67
	v_add_f16_e32 v9, v14, v9
	v_fma_f16 v14, v53, s5, -v50
	v_add_f16_sdwa v7, v36, v7 dst_sel:DWORD dst_unused:UNUSED_PAD src0_sel:WORD_1 src1_sel:DWORD
	v_add_f16_e32 v49, v36, v49
	v_fma_f16 v50, v26, s16, v65
	v_add_f16_e32 v64, v68, v64
	v_mul_f16_sdwa v68, v31, s17 dst_sel:DWORD dst_unused:UNUSED_PAD src0_sel:WORD_1 src1_sel:DWORD
	v_add_f16_e32 v7, v14, v7
	v_fma_f16 v14, v55, s15, -v56
	v_add_f16_e32 v49, v50, v49
	v_fma_f16 v51, v30, s10, v66
	v_add_f16_e32 v38, v69, v38
	v_fma_f16 v69, v33, s7, -v68
	v_add_f16_e32 v7, v14, v7
	v_fma_f16 v15, v57, s7, -v58
	s_mov_b32 s19, 0x3b15388b
	v_add_f16_e32 v49, v51, v49
	v_fma_f16 v53, v32, s5, v67
	v_add_f16_e32 v64, v69, v64
	v_mul_f16_sdwa v69, v34, s0 dst_sel:DWORD dst_unused:UNUSED_PAD src0_sel:WORD_1 src1_sel:DWORD
	v_add_f16_e32 v7, v15, v7
	v_pk_mul_f16 v15, v27, s19
	s_mov_b32 s19, 0xba95b770
	s_mov_b32 s20, 0x388bb5ac
	v_add_f16_e32 v49, v53, v49
	v_fma_f16 v55, v33, s7, v68
	v_alignbit_b32 v14, v36, v36, 16
	v_fma_f16 v45, v59, s10, -v60
	v_pk_mul_f16 v46, v26, s20
	s_mov_b32 s20, 0xbb7bba95
	s_mov_b32 s21, 0x2fb7bbc4
	v_pk_fma_f16 v53, v1, s19, v15 op_sel:[0,0,1] op_sel_hi:[1,1,0]
	v_add_f16_e32 v49, v55, v49
	v_fma_f16 v56, v35, s15, v69
	v_pk_fma_f16 v15, v1, s19, v15 op_sel:[0,0,1] op_sel_hi:[1,1,0] neg_lo:[1,0,0] neg_hi:[1,0,0]
	v_add_f16_e32 v7, v45, v7
	v_pk_mul_f16 v45, v30, s21
	s_mov_b32 s21, 0xb3a8bbf1
	s_mov_b32 s22, 0xb5acb9fd
	v_pk_add_f16 v55, v14, v53
	v_add_f16_e32 v49, v56, v49
	v_pk_fma_f16 v56, v4, s20, v46 op_sel:[0,0,1] op_sel_hi:[1,1,0]
	v_pk_fma_f16 v46, v4, s20, v46 op_sel:[0,0,1] op_sel_hi:[1,1,0] neg_lo:[1,0,0] neg_hi:[1,0,0]
	v_bfi_b32 v53, s18, v53, v15
	v_add_f16_e32 v15, v14, v15
	v_fma_f16 v47, v61, s11, -v62
	v_pk_mul_f16 v48, v32, s22
	s_mov_b32 s22, 0x394ebb7b
	s_mov_b32 s23, 0xb9fd2fb7
	v_pk_add_f16 v55, v56, v55
	v_add_f16_e32 v15, v46, v15
	v_bfi_b32 v46, s18, v56, v46
	v_pk_fma_f16 v56, v28, s21, v45 op_sel:[0,0,1] op_sel_hi:[1,1,0]
	v_pk_add_f16 v53, v14, v53
	v_pk_fma_f16 v45, v28, s21, v45 op_sel:[0,0,1] op_sel_hi:[1,1,0] neg_lo:[1,0,0] neg_hi:[1,0,0]
	v_add_f16_e32 v7, v47, v7
	v_pk_mul_f16 v47, v33, s23
	s_mov_b32 s23, 0x3bf1b94e
	v_pk_add_f16 v46, v46, v53
	v_pk_fma_f16 v53, v29, s22, v48 op_sel:[0,0,1] op_sel_hi:[1,1,0]
	v_add_f16_e32 v15, v45, v15
	v_bfi_b32 v45, s18, v56, v45
	v_pk_fma_f16 v48, v29, s22, v48 op_sel:[0,0,1] op_sel_hi:[1,1,0] neg_lo:[1,0,0] neg_hi:[1,0,0]
	s_mov_b32 s24, 0xbbc43b15
	v_pk_add_f16 v55, v56, v55
	v_pk_fma_f16 v56, v31, s23, v47 op_sel:[0,0,1] op_sel_hi:[1,1,0]
	v_pk_fma_f16 v47, v31, s23, v47 op_sel:[0,0,1] op_sel_hi:[1,1,0] neg_lo:[1,0,0] neg_hi:[1,0,0]
	v_pk_add_f16 v45, v45, v46
	v_add_f16_e32 v15, v48, v15
	v_bfi_b32 v48, s18, v53, v48
	v_pk_mul_f16 v50, v35, s24
	s_mov_b32 s24, 0x3770b3a8
	v_add_f16_e32 v15, v47, v15
	v_pk_add_f16 v45, v48, v45
	v_bfi_b32 v47, s18, v56, v47
	v_pk_fma_f16 v46, v34, s24, v50 op_sel:[0,0,1] op_sel_hi:[1,1,0] neg_lo:[1,0,0] neg_hi:[1,0,0]
	v_pk_add_f16 v45, v47, v45
	v_pk_fma_f16 v47, v34, s24, v50 op_sel:[0,0,1] op_sel_hi:[1,1,0]
	v_fma_f16 v70, v35, s15, -v69
	v_add_f16_e32 v15, v46, v15
	v_bfi_b32 v46, s18, v47, v46
	v_add_f16_e32 v64, v70, v64
	v_pk_add_f16 v55, v53, v55
	v_mul_u32_u24_e32 v53, 48, v0
	v_pk_add_f16 v45, v46, v45
	v_add3_u32 v53, v23, v53, v25
	v_alignbit_b32 v8, v8, v45, 16
	v_pack_b32_f16 v45, v64, v45
	ds_write2_b32 v53, v45, v8 offset0:1 offset1:2
	v_pk_add_f16 v8, v36, v39
	v_pk_add_f16 v8, v40, v8
	;; [unrolled: 1-line block ×6, first 2 shown]
	v_pack_b32_f16 v10, v10, v12
	ds_write2_b32 v53, v10, v8 offset0:3 offset1:4
	v_pack_b32_f16 v8, v54, v52
	ds_write2_b32 v53, v6, v8 offset1:5
	v_pk_mul_f16 v6, v27, s15 op_sel_hi:[1,0]
	v_pk_fma_f16 v8, v1, s0, v6 op_sel:[0,0,1] op_sel_hi:[1,0,0] neg_lo:[1,0,0] neg_hi:[1,0,0]
	v_pk_mul_f16 v10, v26, s11 op_sel_hi:[1,0]
	v_pk_add_f16 v8, v14, v8
	v_pk_fma_f16 v12, v4, s6, v10 op_sel:[0,0,1] op_sel_hi:[1,0,0] neg_lo:[1,0,0] neg_hi:[1,0,0]
	v_pk_add_f16 v8, v12, v8
	v_pk_mul_f16 v12, v30, s7 op_sel_hi:[1,0]
	v_pk_fma_f16 v26, v28, s17, v12 op_sel:[0,0,1] op_sel_hi:[1,0,0] neg_lo:[1,0,0] neg_hi:[1,0,0]
	v_pk_add_f16 v8, v26, v8
	v_pk_mul_f16 v26, v32, s16 op_sel_hi:[1,0]
	v_pk_fma_f16 v1, v1, s0, v6 op_sel:[0,0,1] op_sel_hi:[1,0,0]
	v_pk_fma_f16 v27, v29, s14, v26 op_sel:[0,0,1] op_sel_hi:[1,0,0] neg_lo:[1,0,0] neg_hi:[1,0,0]
	v_pk_add_f16 v1, v14, v1
	v_pk_fma_f16 v4, v4, s6, v10 op_sel:[0,0,1] op_sel_hi:[1,0,0]
	v_pk_add_f16 v8, v27, v8
	v_pk_mul_f16 v27, v33, s5 op_sel_hi:[1,0]
	v_pk_add_f16 v1, v4, v1
	v_pk_fma_f16 v4, v28, s17, v12 op_sel:[0,0,1] op_sel_hi:[1,0,0]
	v_pk_fma_f16 v30, v31, s4, v27 op_sel:[0,0,1] op_sel_hi:[1,0,0] neg_lo:[1,0,0] neg_hi:[1,0,0]
	v_pk_add_f16 v1, v4, v1
	v_pk_fma_f16 v4, v29, s14, v26 op_sel:[0,0,1] op_sel_hi:[1,0,0]
	v_pk_add_f16 v8, v30, v8
	v_pk_mul_f16 v30, v35, s10 op_sel_hi:[1,0]
	v_pk_add_f16 v1, v4, v1
	v_pk_fma_f16 v4, v31, s4, v27 op_sel:[0,0,1] op_sel_hi:[1,0,0]
	v_pk_fma_f16 v32, v34, s1, v30 op_sel:[0,0,1] op_sel_hi:[1,0,0] neg_lo:[1,0,0] neg_hi:[1,0,0]
	v_pk_add_f16 v1, v4, v1
	v_pk_fma_f16 v4, v34, s1, v30 op_sel:[0,0,1] op_sel_hi:[1,0,0]
	v_pk_add_f16 v8, v32, v8
	v_pk_add_f16 v1, v4, v1
	v_alignbit_b32 v4, v8, v1, 16
	v_alignbit_b32 v1, v1, v8, 16
	s_mov_b32 s0, 0x5040100
	v_mul_f16_e32 v16, 0xb94e, v34
	ds_write2_b32 v53, v1, v4 offset0:6 offset1:7
	v_pack_b32_f16 v1, v38, v37
	v_perm_b32 v4, v24, v5, s0
	ds_write2_b32 v53, v1, v4 offset0:8 offset1:9
	v_bfi_b32 v1, s18, v16, v55
	v_pk_mul_f16 v51, v34, s24
	v_pk_add_f16 v1, v11, v1 neg_lo:[0,1] neg_hi:[0,1]
	v_pk_add_f16 v4, v56, v55
	v_bfi_b32 v1, s18, v1, v4
	v_pack_b32_f16 v4, v17, v50
	v_bfi_b32 v6, s18, v13, v51
	v_pk_add_f16 v4, v4, v6
	v_pk_add_f16 v1, v1, v4
	v_alignbit_b32 v4, v7, v1, 16
	v_pack_b32_f16 v1, v9, v1
	ds_write2_b32 v53, v1, v4 offset0:10 offset1:11
	v_pack_b32_f16 v1, v49, v15
	ds_write_b32 v53, v1 offset:48
.LBB0_13:
	s_or_b64 exec, exec, s[2:3]
	v_add_u32_e32 v8, -13, v0
	v_cmp_gt_u32_e64 s[0:1], 13, v0
	v_cndmask_b32_e64 v1, v8, v0, s[0:1]
	v_lshlrev_b32_e32 v6, 3, v1
	v_mov_b32_e32 v7, 0
	v_lshlrev_b64 v[9:10], 2, v[6:7]
	v_mov_b32_e32 v4, s9
	v_add_co_u32_e64 v26, s[2:3], s8, v9
	v_addc_co_u32_e64 v27, s[2:3], v4, v10, s[2:3]
	s_waitcnt lgkmcnt(0)
	; wave barrier
	s_waitcnt lgkmcnt(0)
	global_load_dwordx4 v[9:12], v[26:27], off
	global_load_dwordx4 v[13:16], v[26:27], off offset:16
	ds_read_b32 v6, v18
	ds_read2_b32 v[26:27], v20 offset0:26 offset1:52
	ds_read2_b32 v[28:29], v20 offset0:78 offset1:104
	;; [unrolled: 1-line block ×4, first 2 shown]
	s_movk_i32 s2, 0x3be1
	s_waitcnt lgkmcnt(3)
	v_lshrrev_b32_e32 v35, 16, v26
	v_lshrrev_b32_e32 v36, 16, v27
	s_waitcnt lgkmcnt(1)
	v_lshrrev_b32_e32 v4, 16, v31
	s_waitcnt lgkmcnt(0)
	v_lshrrev_b32_e32 v17, 16, v32
	v_lshrrev_b32_e32 v34, 16, v33
	;; [unrolled: 1-line block ×5, first 2 shown]
	s_movk_i32 s5, 0x3a21
	v_lshrrev_b32_e32 v40, 16, v6
	s_movk_i32 s3, 0x3aee
	s_movk_i32 s6, 0x318f
	s_movk_i32 s4, 0x3579
	s_mov_b32 s7, 0xbb84
	s_mov_b32 s10, 0xb924
	v_lshlrev_b32_e32 v1, 2, v1
	s_waitcnt lgkmcnt(0)
	; wave barrier
	s_waitcnt vmcnt(1)
	v_mul_f16_sdwa v41, v9, v35 dst_sel:DWORD dst_unused:UNUSED_PAD src0_sel:WORD_1 src1_sel:DWORD
	v_mul_f16_sdwa v42, v9, v26 dst_sel:DWORD dst_unused:UNUSED_PAD src0_sel:WORD_1 src1_sel:DWORD
	s_waitcnt vmcnt(0)
	v_mul_f16_sdwa v51, v4, v14 dst_sel:DWORD dst_unused:UNUSED_PAD src0_sel:DWORD src1_sel:WORD_1
	v_mul_f16_sdwa v52, v31, v14 dst_sel:DWORD dst_unused:UNUSED_PAD src0_sel:DWORD src1_sel:WORD_1
	;; [unrolled: 1-line block ×6, first 2 shown]
	v_mul_f16_sdwa v43, v10, v36 dst_sel:DWORD dst_unused:UNUSED_PAD src0_sel:WORD_1 src1_sel:DWORD
	v_mul_f16_sdwa v44, v10, v27 dst_sel:DWORD dst_unused:UNUSED_PAD src0_sel:WORD_1 src1_sel:DWORD
	;; [unrolled: 1-line block ×4, first 2 shown]
	v_fma_f16 v26, v9, v26, -v41
	v_fma_f16 v9, v9, v35, v42
	v_fma_f16 v31, v31, v14, -v51
	v_fma_f16 v4, v4, v14, v52
	;; [unrolled: 2-line block ×6, first 2 shown]
	v_add_f16_e32 v32, v26, v17
	v_add_f16_e32 v33, v9, v16
	v_sub_f16_e32 v17, v26, v17
	v_sub_f16_e32 v9, v9, v16
	v_mul_f16_sdwa v47, v12, v38 dst_sel:DWORD dst_unused:UNUSED_PAD src0_sel:WORD_1 src1_sel:DWORD
	v_mul_f16_sdwa v48, v12, v29 dst_sel:DWORD dst_unused:UNUSED_PAD src0_sel:WORD_1 src1_sel:DWORD
	;; [unrolled: 1-line block ×4, first 2 shown]
	v_add_f16_e32 v34, v27, v14
	v_add_f16_e32 v35, v10, v15
	;; [unrolled: 1-line block ×3, first 2 shown]
	v_sub_f16_e32 v14, v27, v14
	v_sub_f16_e32 v10, v10, v15
	v_sub_f16_e32 v11, v11, v4
	v_mul_f16_e32 v4, 0x3924, v17
	v_mul_f16_e32 v26, 0x3924, v9
	v_fma_f16 v29, v12, v29, -v47
	v_fma_f16 v12, v12, v38, v48
	v_fma_f16 v30, v13, v30, -v49
	v_fma_f16 v13, v13, v39, v50
	v_add_f16_e32 v36, v28, v31
	v_sub_f16_e32 v15, v28, v31
	v_fma_f16 v31, v33, s5, v40
	v_fma_f16 v4, v14, s2, v4
	;; [unrolled: 1-line block ×3, first 2 shown]
	v_sub_f16_e32 v16, v29, v30
	v_sub_f16_e32 v27, v12, v13
	v_fma_f16 v31, v35, s6, v31
	v_fma_f16 v4, v15, s3, v4
	;; [unrolled: 1-line block ×5, first 2 shown]
	v_fma_f16 v26, v37, -0.5, v31
	v_add_f16_e32 v39, v12, v13
	v_fma_f16 v26, v39, s7, v26
	v_sub_f16_e32 v41, v26, v38
	v_fma_f16 v26, v38, 2.0, v41
	v_mul_f16_e32 v38, 0xb924, v16
	v_mul_f16_e32 v42, 0xb924, v27
	v_fma_f16 v38, v17, s2, v38
	v_fma_f16 v42, v9, s2, v42
	s_mov_b32 s2, 0xbaee
	v_fma_f16 v42, v11, s2, v42
	v_add_f16_e32 v46, v27, v9
	v_mul_f16_e32 v27, 0x3be1, v27
	v_fma_f16 v38, v15, s2, v38
	v_fma_f16 v42, v10, s4, v42
	v_add_f16_e32 v45, v16, v17
	v_sub_f16_e32 v46, v46, v10
	v_mul_f16_e32 v16, 0x3be1, v16
	v_fma_f16 v10, v10, s10, -v27
	v_fma_f16 v38, v14, s4, v38
	v_sub_f16_e32 v45, v45, v14
	v_add_f16_e32 v51, v34, v32
	v_fma_f16 v14, v14, s10, -v16
	v_fma_f16 v10, v11, s3, v10
	v_add_f16_e32 v52, v35, v33
	v_fma_f16 v14, v15, s3, v14
	v_fma_f16 v9, v9, s4, v10
	v_add_f16_e32 v10, v36, v51
	v_fma_f16 v11, v17, s4, v14
	v_add_f16_e32 v14, v37, v52
	v_add_f16_e32 v10, v29, v10
	;; [unrolled: 1-line block ×5, first 2 shown]
	v_fma_f16 v28, v32, s5, v6
	v_fma_f16 v43, v31, s5, v6
	v_add_f16_e32 v49, v36, v6
	v_add_f16_e32 v12, v13, v12
	;; [unrolled: 1-line block ×3, first 2 shown]
	v_fma_f16 v6, v34, s5, v6
	v_fma_f16 v13, v35, s5, v40
	;; [unrolled: 1-line block ×3, first 2 shown]
	v_add_f16_e32 v50, v37, v40
	v_add_f16_e32 v53, v31, v51
	;; [unrolled: 1-line block ×3, first 2 shown]
	v_fma_f16 v6, v31, s6, v6
	v_fma_f16 v13, v39, s6, v13
	;; [unrolled: 1-line block ×4, first 2 shown]
	v_fma_f16 v49, v53, -0.5, v49
	v_fma_f16 v50, v54, -0.5, v50
	;; [unrolled: 1-line block ×4, first 2 shown]
	v_fma_f16 v28, v34, s6, v28
	v_fma_f16 v43, v36, -0.5, v43
	v_fma_f16 v44, v37, -0.5, v44
	v_mul_f16_e32 v47, 0x3aee, v45
	v_mul_f16_e32 v48, 0x3aee, v46
	v_fma_f16 v46, v46, s3, v49
	v_fma_f16 v45, v45, s2, v50
	;; [unrolled: 1-line block ×4, first 2 shown]
	v_mov_b32_e32 v14, 0x1d4
	v_cmp_lt_u32_e64 s[2:3], 12, v0
	v_fma_f16 v28, v36, -0.5, v28
	v_fma_f16 v43, v34, s7, v43
	v_fma_f16 v44, v35, s7, v44
	v_add_f16_e32 v6, v9, v6
	v_sub_f16_e32 v13, v13, v11
	v_cndmask_b32_e64 v14, 0, v14, s[2:3]
	v_fma_f16 v28, v31, s7, v28
	v_add_f16_e32 v43, v42, v43
	v_sub_f16_e32 v44, v44, v38
	v_fma_f16 v9, v9, -2.0, v6
	v_fma_f16 v11, v11, 2.0, v13
	v_add_u32_e32 v14, 0, v14
	v_add_f16_e32 v28, v4, v28
	v_fma_f16 v42, v42, -2.0, v43
	v_fma_f16 v38, v38, 2.0, v44
	v_fma_f16 v48, v48, -2.0, v46
	v_fma_f16 v47, v47, 2.0, v45
	v_add_f16_e32 v12, v40, v12
	v_add3_u32 v1, v14, v1, v25
	v_pack_b32_f16 v6, v6, v13
	v_pack_b32_f16 v9, v9, v11
	v_fma_f16 v4, v4, -2.0, v28
	v_pack_b32_f16 v10, v10, v12
	v_pack_b32_f16 v12, v28, v41
	ds_write2_b32 v1, v6, v9 offset0:52 offset1:65
	v_pack_b32_f16 v6, v48, v47
	v_pack_b32_f16 v9, v42, v38
	ds_write2_b32 v1, v10, v12 offset1:13
	v_pack_b32_f16 v10, v43, v44
	v_pack_b32_f16 v12, v46, v45
	ds_write2_b32 v1, v6, v9 offset0:78 offset1:91
	v_pack_b32_f16 v6, v4, v26
	ds_write2_b32 v1, v10, v12 offset0:26 offset1:39
	ds_write_b32 v1, v6 offset:416
	s_waitcnt lgkmcnt(0)
	; wave barrier
	s_waitcnt lgkmcnt(0)
	ds_read2_b32 v[12:13], v20 offset0:78 offset1:117
	ds_read2_b32 v[14:15], v20 offset0:26 offset1:52
	;; [unrolled: 1-line block ×3, first 2 shown]
	ds_read_b32 v9, v18
	ds_read_b32 v25, v20 offset:780
	s_and_saveexec_b64 s[2:3], s[0:1]
	s_cbranch_execz .LBB0_15
; %bb.14:
	ds_read2_b32 v[4:5], v20 offset0:104 offset1:221
	v_add_u32_e32 v8, 0x68, v0
	s_waitcnt lgkmcnt(0)
	v_lshrrev_b32_e32 v26, 16, v4
	v_lshrrev_b32_e32 v24, 16, v5
.LBB0_15:
	s_or_b64 exec, exec, s[2:3]
	v_mov_b32_e32 v1, v7
	v_lshlrev_b64 v[6:7], 2, v[0:1]
	v_mov_b32_e32 v1, s9
	v_add_co_u32_e64 v10, s[2:3], s8, v6
	v_addc_co_u32_e64 v11, s[2:3], v1, v7, s[2:3]
	global_load_dword v1, v[10:11], off offset:416
	global_load_dword v27, v[10:11], off offset:520
	;; [unrolled: 1-line block ×4, first 2 shown]
	v_lshl_add_u32 v21, v21, 2, v23
	s_mov_b32 s2, 0xffff
	s_waitcnt lgkmcnt(0)
	; wave barrier
	s_waitcnt vmcnt(3) lgkmcnt(0)
	v_pk_mul_f16 v23, v1, v13 op_sel:[0,1]
	s_waitcnt vmcnt(2)
	v_pk_mul_f16 v30, v27, v16 op_sel:[0,1]
	s_waitcnt vmcnt(1)
	;; [unrolled: 2-line block ×3, first 2 shown]
	v_pk_mul_f16 v32, v29, v25 op_sel:[0,1]
	v_pk_fma_f16 v33, v1, v13, v23 op_sel:[0,0,1] op_sel_hi:[1,1,0] neg_lo:[0,0,1] neg_hi:[0,0,1]
	v_pk_fma_f16 v1, v1, v13, v23 op_sel:[0,0,1] op_sel_hi:[1,0,0]
	v_pk_fma_f16 v13, v27, v16, v30 op_sel:[0,0,1] op_sel_hi:[1,1,0] neg_lo:[0,0,1] neg_hi:[0,0,1]
	v_pk_fma_f16 v16, v27, v16, v30 op_sel:[0,0,1] op_sel_hi:[1,0,0]
	;; [unrolled: 2-line block ×4, first 2 shown]
	v_bfi_b32 v1, s2, v33, v1
	v_bfi_b32 v13, s2, v13, v16
	;; [unrolled: 1-line block ×4, first 2 shown]
	v_pk_add_f16 v1, v9, v1 neg_lo:[0,1] neg_hi:[0,1]
	v_pk_add_f16 v13, v14, v13 neg_lo:[0,1] neg_hi:[0,1]
	;; [unrolled: 1-line block ×4, first 2 shown]
	v_pk_fma_f16 v9, v9, 2.0, v1 op_sel_hi:[1,0,1] neg_lo:[0,0,1] neg_hi:[0,0,1]
	v_pk_fma_f16 v14, v14, 2.0, v13 op_sel_hi:[1,0,1] neg_lo:[0,0,1] neg_hi:[0,0,1]
	;; [unrolled: 1-line block ×4, first 2 shown]
	ds_write_b32 v20, v1 offset:468
	ds_write2_b32 v21, v13, v16 offset0:143 offset1:169
	ds_write2_b32 v20, v9, v14 offset1:26
	ds_write2_b32 v20, v15, v12 offset0:52 offset1:78
	ds_write_b32 v21, v17 offset:780
	s_and_saveexec_b64 s[4:5], s[0:1]
	s_cbranch_execz .LBB0_17
; %bb.16:
	v_mov_b32_e32 v9, 0
	v_lshlrev_b64 v[8:9], 2, v[8:9]
	v_mov_b32_e32 v1, s9
	v_add_co_u32_e64 v8, s[2:3], s8, v8
	v_addc_co_u32_e64 v9, s[2:3], v1, v9, s[2:3]
	global_load_dword v1, v[8:9], off offset:416
	s_waitcnt vmcnt(0)
	v_mul_f16_sdwa v8, v24, v1 dst_sel:DWORD dst_unused:UNUSED_PAD src0_sel:DWORD src1_sel:WORD_1
	v_mul_f16_sdwa v9, v5, v1 dst_sel:DWORD dst_unused:UNUSED_PAD src0_sel:DWORD src1_sel:WORD_1
	v_fma_f16 v5, v5, v1, -v8
	v_fma_f16 v1, v24, v1, v9
	v_sub_f16_e32 v5, v4, v5
	v_sub_f16_e32 v1, v26, v1
	v_fma_f16 v4, v4, 2.0, -v5
	v_fma_f16 v8, v26, 2.0, -v1
	v_pack_b32_f16 v4, v4, v8
	v_pack_b32_f16 v1, v5, v1
	ds_write2_b32 v20, v4, v1 offset0:104 offset1:221
.LBB0_17:
	s_or_b64 exec, exec, s[4:5]
	s_waitcnt lgkmcnt(0)
	; wave barrier
	s_waitcnt lgkmcnt(0)
	ds_read_b32 v4, v18
	v_sub_u32_e32 v1, v22, v19
	v_cmp_ne_u32_e64 s[2:3], 0, v0
                                        ; implicit-def: $vgpr12
                                        ; implicit-def: $vgpr8
                                        ; implicit-def: $vgpr9
	s_and_saveexec_b64 s[4:5], s[2:3]
	s_xor_b64 s[2:3], exec, s[4:5]
	s_cbranch_execz .LBB0_19
; %bb.18:
	global_load_dword v5, v[10:11], off offset:884
	ds_read_b32 v8, v1 offset:936
                                        ; implicit-def: $vgpr22
	s_waitcnt lgkmcnt(0)
	v_add_f16_sdwa v9, v8, v4 dst_sel:DWORD dst_unused:UNUSED_PAD src0_sel:WORD_1 src1_sel:WORD_1
	v_sub_f16_e32 v11, v4, v8
	v_add_f16_e32 v10, v8, v4
	v_sub_f16_sdwa v4, v4, v8 dst_sel:DWORD dst_unused:UNUSED_PAD src0_sel:WORD_1 src1_sel:WORD_1
	v_mul_f16_e32 v8, 0.5, v9
	v_mul_f16_e32 v11, 0.5, v11
	;; [unrolled: 1-line block ×3, first 2 shown]
	s_waitcnt vmcnt(0)
	v_lshrrev_b32_e32 v9, 16, v5
	v_mul_f16_e32 v12, v9, v11
	v_fma_f16 v14, v10, 0.5, v12
	v_fma_f16 v13, v8, v9, v4
	v_fma_f16 v4, v8, v9, -v4
	v_fma_f16 v10, v10, 0.5, -v12
	v_fma_f16 v12, v5, v8, v14
	v_fma_f16 v9, -v5, v11, v13
	v_fma_f16 v8, -v5, v8, v10
	ds_write_b16 v18, v12
	v_fma_f16 v12, -v5, v11, v4
                                        ; implicit-def: $vgpr4
.LBB0_19:
	s_andn2_saveexec_b64 s[2:3], s[2:3]
	s_cbranch_execz .LBB0_21
; %bb.20:
	ds_read_u16 v5, v22 offset:470
	s_waitcnt lgkmcnt(1)
	v_add_f16_sdwa v10, v4, v4 dst_sel:DWORD dst_unused:UNUSED_PAD src0_sel:WORD_1 src1_sel:DWORD
	v_sub_f16_sdwa v8, v4, v4 dst_sel:DWORD dst_unused:UNUSED_PAD src0_sel:DWORD src1_sel:WORD_1
	v_mov_b32_e32 v9, 0
	v_mov_b32_e32 v12, 0
	s_waitcnt lgkmcnt(0)
	v_xor_b32_e32 v4, 0x8000, v5
	ds_write_b16 v18, v10
	ds_write_b16 v22, v4 offset:470
.LBB0_21:
	s_or_b64 exec, exec, s[2:3]
	s_add_u32 s2, s8, 0x374
	s_addc_u32 s3, s9, 0
	v_mov_b32_e32 v5, s3
	s_waitcnt lgkmcnt(0)
	v_add_co_u32_e64 v4, s[2:3], s2, v6
	v_addc_co_u32_e64 v5, s[2:3], v5, v7, s[2:3]
	global_load_dword v10, v[4:5], off offset:104
	global_load_dword v11, v[4:5], off offset:208
	;; [unrolled: 1-line block ×3, first 2 shown]
	s_mov_b32 s2, 0x5040100
	v_perm_b32 v8, v12, v8, s2
	ds_write_b16 v18, v9 offset:2
	ds_write_b32 v1, v8 offset:936
	ds_read_b32 v8, v18 offset:104
	ds_read_b32 v9, v1 offset:832
	s_mov_b32 s4, 0xffff
	s_waitcnt lgkmcnt(0)
	v_pk_add_f16 v12, v8, v9 neg_lo:[0,1] neg_hi:[0,1]
	v_pk_add_f16 v8, v8, v9
	v_bfi_b32 v9, s4, v12, v8
	v_bfi_b32 v8, s4, v8, v12
	v_pk_mul_f16 v9, v9, 0.5 op_sel_hi:[1,0]
	v_pk_mul_f16 v8, v8, 0.5 op_sel_hi:[1,0]
	s_waitcnt vmcnt(2)
	v_pk_fma_f16 v12, v10, v9, v8 op_sel:[1,0,0]
	v_pk_mul_f16 v14, v10, v9 op_sel_hi:[0,1]
	v_pk_fma_f16 v15, v10, v9, v8 op_sel:[1,0,0] neg_lo:[1,0,0] neg_hi:[1,0,0]
	v_pk_fma_f16 v8, v10, v9, v8 op_sel:[1,0,0] neg_lo:[0,0,1] neg_hi:[0,0,1]
	v_pk_add_f16 v9, v12, v14 op_sel:[0,1] op_sel_hi:[1,0]
	v_pk_add_f16 v10, v12, v14 op_sel:[0,1] op_sel_hi:[1,0] neg_lo:[0,1] neg_hi:[0,1]
	v_pk_add_f16 v12, v15, v14 op_sel:[0,1] op_sel_hi:[1,0] neg_lo:[0,1] neg_hi:[0,1]
	v_pk_add_f16 v8, v8, v14 op_sel:[0,1] op_sel_hi:[1,0] neg_lo:[0,1] neg_hi:[0,1]
	v_bfi_b32 v9, s4, v9, v10
	v_bfi_b32 v8, s4, v12, v8
	ds_write_b32 v18, v9 offset:104
	ds_write_b32 v1, v8 offset:832
	ds_read_b32 v8, v18 offset:208
	ds_read_b32 v9, v1 offset:728
	s_waitcnt lgkmcnt(0)
	v_pk_add_f16 v10, v8, v9 neg_lo:[0,1] neg_hi:[0,1]
	v_pk_add_f16 v8, v8, v9
	v_bfi_b32 v9, s4, v10, v8
	v_bfi_b32 v8, s4, v8, v10
	v_pk_mul_f16 v9, v9, 0.5 op_sel_hi:[1,0]
	v_pk_mul_f16 v8, v8, 0.5 op_sel_hi:[1,0]
	s_waitcnt vmcnt(1)
	v_pk_fma_f16 v10, v11, v9, v8 op_sel:[1,0,0]
	v_pk_mul_f16 v12, v11, v9 op_sel_hi:[0,1]
	v_pk_fma_f16 v14, v11, v9, v8 op_sel:[1,0,0] neg_lo:[1,0,0] neg_hi:[1,0,0]
	v_pk_fma_f16 v8, v11, v9, v8 op_sel:[1,0,0] neg_lo:[0,0,1] neg_hi:[0,0,1]
	v_pk_add_f16 v9, v10, v12 op_sel:[0,1] op_sel_hi:[1,0]
	v_pk_add_f16 v10, v10, v12 op_sel:[0,1] op_sel_hi:[1,0] neg_lo:[0,1] neg_hi:[0,1]
	v_pk_add_f16 v11, v14, v12 op_sel:[0,1] op_sel_hi:[1,0] neg_lo:[0,1] neg_hi:[0,1]
	;; [unrolled: 1-line block ×3, first 2 shown]
	v_bfi_b32 v9, s4, v9, v10
	v_bfi_b32 v8, s4, v11, v8
	ds_write_b32 v18, v9 offset:208
	ds_write_b32 v1, v8 offset:728
	ds_read_b32 v8, v18 offset:312
	ds_read_b32 v9, v1 offset:624
	s_waitcnt lgkmcnt(0)
	v_pk_add_f16 v10, v8, v9 neg_lo:[0,1] neg_hi:[0,1]
	v_pk_add_f16 v8, v8, v9
	v_bfi_b32 v9, s4, v10, v8
	v_bfi_b32 v8, s4, v8, v10
	v_pk_mul_f16 v9, v9, 0.5 op_sel_hi:[1,0]
	v_pk_mul_f16 v8, v8, 0.5 op_sel_hi:[1,0]
	s_waitcnt vmcnt(0)
	v_pk_fma_f16 v10, v13, v9, v8 op_sel:[1,0,0]
	v_pk_mul_f16 v11, v13, v9 op_sel_hi:[0,1]
	v_pk_fma_f16 v12, v13, v9, v8 op_sel:[1,0,0] neg_lo:[1,0,0] neg_hi:[1,0,0]
	v_pk_fma_f16 v8, v13, v9, v8 op_sel:[1,0,0] neg_lo:[0,0,1] neg_hi:[0,0,1]
	v_pk_add_f16 v9, v10, v11 op_sel:[0,1] op_sel_hi:[1,0]
	v_pk_add_f16 v10, v10, v11 op_sel:[0,1] op_sel_hi:[1,0] neg_lo:[0,1] neg_hi:[0,1]
	v_pk_add_f16 v12, v12, v11 op_sel:[0,1] op_sel_hi:[1,0] neg_lo:[0,1] neg_hi:[0,1]
	;; [unrolled: 1-line block ×3, first 2 shown]
	v_bfi_b32 v9, s4, v9, v10
	v_bfi_b32 v8, s4, v12, v8
	ds_write_b32 v18, v9 offset:312
	ds_write_b32 v1, v8 offset:624
	s_and_saveexec_b64 s[2:3], s[0:1]
	s_cbranch_execz .LBB0_23
; %bb.22:
	global_load_dword v4, v[4:5], off offset:416
	ds_read_b32 v5, v18 offset:416
	ds_read_b32 v8, v1 offset:520
	s_waitcnt lgkmcnt(0)
	v_pk_add_f16 v9, v5, v8 neg_lo:[0,1] neg_hi:[0,1]
	v_pk_add_f16 v5, v5, v8
	v_bfi_b32 v8, s4, v9, v5
	v_bfi_b32 v5, s4, v5, v9
	v_pk_mul_f16 v8, v8, 0.5 op_sel_hi:[1,0]
	v_pk_mul_f16 v5, v5, 0.5 op_sel_hi:[1,0]
	s_waitcnt vmcnt(0)
	v_pk_fma_f16 v9, v4, v8, v5 op_sel:[1,0,0]
	v_pk_mul_f16 v10, v4, v8 op_sel_hi:[0,1]
	v_pk_fma_f16 v11, v4, v8, v5 op_sel:[1,0,0] neg_lo:[1,0,0] neg_hi:[1,0,0]
	v_pk_fma_f16 v4, v4, v8, v5 op_sel:[1,0,0] neg_lo:[0,0,1] neg_hi:[0,0,1]
	v_pk_add_f16 v5, v9, v10 op_sel:[0,1] op_sel_hi:[1,0]
	v_pk_add_f16 v8, v9, v10 op_sel:[0,1] op_sel_hi:[1,0] neg_lo:[0,1] neg_hi:[0,1]
	v_pk_add_f16 v9, v11, v10 op_sel:[0,1] op_sel_hi:[1,0] neg_lo:[0,1] neg_hi:[0,1]
	;; [unrolled: 1-line block ×3, first 2 shown]
	v_bfi_b32 v5, s4, v5, v8
	v_bfi_b32 v4, s4, v9, v4
	ds_write_b32 v18, v5 offset:416
	ds_write_b32 v1, v4 offset:520
.LBB0_23:
	s_or_b64 exec, exec, s[2:3]
	s_waitcnt lgkmcnt(0)
	; wave barrier
	s_waitcnt lgkmcnt(0)
	s_and_saveexec_b64 s[0:1], vcc
	s_cbranch_execz .LBB0_26
; %bb.24:
	ds_read2_b32 v[4:5], v18 offset1:26
	v_mov_b32_e32 v8, s13
	v_add_co_u32_e32 v1, vcc, s12, v2
	v_addc_co_u32_e32 v2, vcc, v8, v3, vcc
	v_add_co_u32_e32 v6, vcc, v1, v6
	v_addc_co_u32_e32 v7, vcc, v2, v7, vcc
	ds_read2_b32 v[8:9], v18 offset0:52 offset1:78
	s_waitcnt lgkmcnt(1)
	global_store_dword v[6:7], v4, off
	global_store_dword v[6:7], v5, off offset:104
	ds_read2_b32 v[3:4], v18 offset0:104 offset1:130
	ds_read2_b32 v[10:11], v18 offset0:156 offset1:182
	ds_read_b32 v5, v18 offset:832
	v_cmp_eq_u32_e32 vcc, 25, v0
	s_waitcnt lgkmcnt(3)
	global_store_dword v[6:7], v8, off offset:208
	global_store_dword v[6:7], v9, off offset:312
	s_waitcnt lgkmcnt(2)
	global_store_dword v[6:7], v3, off offset:416
	global_store_dword v[6:7], v4, off offset:520
	;; [unrolled: 3-line block ×3, first 2 shown]
	s_waitcnt lgkmcnt(0)
	global_store_dword v[6:7], v5, off offset:832
	s_and_b64 exec, exec, vcc
	s_cbranch_execz .LBB0_26
; %bb.25:
	ds_read_b32 v0, v18 offset:836
	s_waitcnt lgkmcnt(0)
	global_store_dword v[1:2], v0, off offset:936
.LBB0_26:
	s_endpgm
	.section	.rodata,"a",@progbits
	.p2align	6, 0x0
	.amdhsa_kernel fft_rtc_fwd_len234_factors_13_9_2_wgs_52_tpt_26_half_ip_CI_unitstride_sbrr_R2C_dirReg
		.amdhsa_group_segment_fixed_size 0
		.amdhsa_private_segment_fixed_size 0
		.amdhsa_kernarg_size 88
		.amdhsa_user_sgpr_count 6
		.amdhsa_user_sgpr_private_segment_buffer 1
		.amdhsa_user_sgpr_dispatch_ptr 0
		.amdhsa_user_sgpr_queue_ptr 0
		.amdhsa_user_sgpr_kernarg_segment_ptr 1
		.amdhsa_user_sgpr_dispatch_id 0
		.amdhsa_user_sgpr_flat_scratch_init 0
		.amdhsa_user_sgpr_private_segment_size 0
		.amdhsa_uses_dynamic_stack 0
		.amdhsa_system_sgpr_private_segment_wavefront_offset 0
		.amdhsa_system_sgpr_workgroup_id_x 1
		.amdhsa_system_sgpr_workgroup_id_y 0
		.amdhsa_system_sgpr_workgroup_id_z 0
		.amdhsa_system_sgpr_workgroup_info 0
		.amdhsa_system_vgpr_workitem_id 0
		.amdhsa_next_free_vgpr 71
		.amdhsa_next_free_sgpr 25
		.amdhsa_reserve_vcc 1
		.amdhsa_reserve_flat_scratch 0
		.amdhsa_float_round_mode_32 0
		.amdhsa_float_round_mode_16_64 0
		.amdhsa_float_denorm_mode_32 3
		.amdhsa_float_denorm_mode_16_64 3
		.amdhsa_dx10_clamp 1
		.amdhsa_ieee_mode 1
		.amdhsa_fp16_overflow 0
		.amdhsa_exception_fp_ieee_invalid_op 0
		.amdhsa_exception_fp_denorm_src 0
		.amdhsa_exception_fp_ieee_div_zero 0
		.amdhsa_exception_fp_ieee_overflow 0
		.amdhsa_exception_fp_ieee_underflow 0
		.amdhsa_exception_fp_ieee_inexact 0
		.amdhsa_exception_int_div_zero 0
	.end_amdhsa_kernel
	.text
.Lfunc_end0:
	.size	fft_rtc_fwd_len234_factors_13_9_2_wgs_52_tpt_26_half_ip_CI_unitstride_sbrr_R2C_dirReg, .Lfunc_end0-fft_rtc_fwd_len234_factors_13_9_2_wgs_52_tpt_26_half_ip_CI_unitstride_sbrr_R2C_dirReg
                                        ; -- End function
	.section	.AMDGPU.csdata,"",@progbits
; Kernel info:
; codeLenInByte = 7248
; NumSgprs: 29
; NumVgprs: 71
; ScratchSize: 0
; MemoryBound: 0
; FloatMode: 240
; IeeeMode: 1
; LDSByteSize: 0 bytes/workgroup (compile time only)
; SGPRBlocks: 3
; VGPRBlocks: 17
; NumSGPRsForWavesPerEU: 29
; NumVGPRsForWavesPerEU: 71
; Occupancy: 3
; WaveLimiterHint : 1
; COMPUTE_PGM_RSRC2:SCRATCH_EN: 0
; COMPUTE_PGM_RSRC2:USER_SGPR: 6
; COMPUTE_PGM_RSRC2:TRAP_HANDLER: 0
; COMPUTE_PGM_RSRC2:TGID_X_EN: 1
; COMPUTE_PGM_RSRC2:TGID_Y_EN: 0
; COMPUTE_PGM_RSRC2:TGID_Z_EN: 0
; COMPUTE_PGM_RSRC2:TIDIG_COMP_CNT: 0
	.type	__hip_cuid_56a2bc4b728b3ff1,@object ; @__hip_cuid_56a2bc4b728b3ff1
	.section	.bss,"aw",@nobits
	.globl	__hip_cuid_56a2bc4b728b3ff1
__hip_cuid_56a2bc4b728b3ff1:
	.byte	0                               ; 0x0
	.size	__hip_cuid_56a2bc4b728b3ff1, 1

	.ident	"AMD clang version 19.0.0git (https://github.com/RadeonOpenCompute/llvm-project roc-6.4.0 25133 c7fe45cf4b819c5991fe208aaa96edf142730f1d)"
	.section	".note.GNU-stack","",@progbits
	.addrsig
	.addrsig_sym __hip_cuid_56a2bc4b728b3ff1
	.amdgpu_metadata
---
amdhsa.kernels:
  - .args:
      - .actual_access:  read_only
        .address_space:  global
        .offset:         0
        .size:           8
        .value_kind:     global_buffer
      - .offset:         8
        .size:           8
        .value_kind:     by_value
      - .actual_access:  read_only
        .address_space:  global
        .offset:         16
        .size:           8
        .value_kind:     global_buffer
      - .actual_access:  read_only
        .address_space:  global
        .offset:         24
        .size:           8
        .value_kind:     global_buffer
      - .offset:         32
        .size:           8
        .value_kind:     by_value
      - .actual_access:  read_only
        .address_space:  global
        .offset:         40
        .size:           8
        .value_kind:     global_buffer
      - .actual_access:  read_only
        .address_space:  global
        .offset:         48
        .size:           8
        .value_kind:     global_buffer
      - .offset:         56
        .size:           4
        .value_kind:     by_value
      - .actual_access:  read_only
        .address_space:  global
        .offset:         64
        .size:           8
        .value_kind:     global_buffer
      - .actual_access:  read_only
        .address_space:  global
        .offset:         72
        .size:           8
        .value_kind:     global_buffer
      - .address_space:  global
        .offset:         80
        .size:           8
        .value_kind:     global_buffer
    .group_segment_fixed_size: 0
    .kernarg_segment_align: 8
    .kernarg_segment_size: 88
    .language:       OpenCL C
    .language_version:
      - 2
      - 0
    .max_flat_workgroup_size: 52
    .name:           fft_rtc_fwd_len234_factors_13_9_2_wgs_52_tpt_26_half_ip_CI_unitstride_sbrr_R2C_dirReg
    .private_segment_fixed_size: 0
    .sgpr_count:     29
    .sgpr_spill_count: 0
    .symbol:         fft_rtc_fwd_len234_factors_13_9_2_wgs_52_tpt_26_half_ip_CI_unitstride_sbrr_R2C_dirReg.kd
    .uniform_work_group_size: 1
    .uses_dynamic_stack: false
    .vgpr_count:     71
    .vgpr_spill_count: 0
    .wavefront_size: 64
amdhsa.target:   amdgcn-amd-amdhsa--gfx906
amdhsa.version:
  - 1
  - 2
...

	.end_amdgpu_metadata
